;; amdgpu-corpus repo=ROCm/rocFFT kind=compiled arch=gfx906 opt=O3
	.text
	.amdgcn_target "amdgcn-amd-amdhsa--gfx906"
	.amdhsa_code_object_version 6
	.protected	fft_rtc_fwd_len528_factors_4_4_3_11_wgs_48_tpt_48_halfLds_half_op_CI_CI_unitstride_sbrr_dirReg ; -- Begin function fft_rtc_fwd_len528_factors_4_4_3_11_wgs_48_tpt_48_halfLds_half_op_CI_CI_unitstride_sbrr_dirReg
	.globl	fft_rtc_fwd_len528_factors_4_4_3_11_wgs_48_tpt_48_halfLds_half_op_CI_CI_unitstride_sbrr_dirReg
	.p2align	8
	.type	fft_rtc_fwd_len528_factors_4_4_3_11_wgs_48_tpt_48_halfLds_half_op_CI_CI_unitstride_sbrr_dirReg,@function
fft_rtc_fwd_len528_factors_4_4_3_11_wgs_48_tpt_48_halfLds_half_op_CI_CI_unitstride_sbrr_dirReg: ; @fft_rtc_fwd_len528_factors_4_4_3_11_wgs_48_tpt_48_halfLds_half_op_CI_CI_unitstride_sbrr_dirReg
; %bb.0:
	s_load_dwordx4 s[8:11], s[4:5], 0x58
	s_load_dwordx4 s[12:15], s[4:5], 0x0
	;; [unrolled: 1-line block ×3, first 2 shown]
	v_mul_u32_u24_e32 v1, 0x556, v0
	v_add_u32_sdwa v8, s6, v1 dst_sel:DWORD dst_unused:UNUSED_PAD src0_sel:DWORD src1_sel:WORD_1
	v_mov_b32_e32 v5, 0
	s_waitcnt lgkmcnt(0)
	v_cmp_lt_u64_e64 s[0:1], s[14:15], 2
	v_mov_b32_e32 v1, 0
	v_mov_b32_e32 v9, v5
	s_and_b64 vcc, exec, s[0:1]
	v_mov_b32_e32 v2, 0
	s_cbranch_vccnz .LBB0_8
; %bb.1:
	s_load_dwordx2 s[0:1], s[4:5], 0x10
	s_add_u32 s2, s18, 8
	s_addc_u32 s3, s19, 0
	s_add_u32 s6, s16, 8
	v_mov_b32_e32 v1, 0
	s_addc_u32 s7, s17, 0
	v_mov_b32_e32 v2, 0
	s_waitcnt lgkmcnt(0)
	s_add_u32 s20, s0, 8
	v_mov_b32_e32 v4, v2
	s_addc_u32 s21, s1, 0
	s_mov_b64 s[22:23], 1
	v_mov_b32_e32 v3, v1
.LBB0_2:                                ; =>This Inner Loop Header: Depth=1
	s_load_dwordx2 s[24:25], s[20:21], 0x0
	s_waitcnt lgkmcnt(0)
	v_or_b32_e32 v6, s25, v9
	v_cmp_ne_u64_e32 vcc, 0, v[5:6]
                                        ; implicit-def: $vgpr6_vgpr7
	s_and_saveexec_b64 s[0:1], vcc
	s_xor_b64 s[26:27], exec, s[0:1]
	s_cbranch_execz .LBB0_4
; %bb.3:                                ;   in Loop: Header=BB0_2 Depth=1
	v_cvt_f32_u32_e32 v6, s24
	v_cvt_f32_u32_e32 v7, s25
	s_sub_u32 s0, 0, s24
	s_subb_u32 s1, 0, s25
	v_mac_f32_e32 v6, 0x4f800000, v7
	v_rcp_f32_e32 v6, v6
	v_mul_f32_e32 v6, 0x5f7ffffc, v6
	v_mul_f32_e32 v7, 0x2f800000, v6
	v_trunc_f32_e32 v7, v7
	v_mac_f32_e32 v6, 0xcf800000, v7
	v_cvt_u32_f32_e32 v7, v7
	v_cvt_u32_f32_e32 v6, v6
	v_mul_lo_u32 v10, s0, v7
	v_mul_hi_u32 v11, s0, v6
	v_mul_lo_u32 v13, s1, v6
	v_mul_lo_u32 v12, s0, v6
	v_add_u32_e32 v10, v11, v10
	v_add_u32_e32 v10, v10, v13
	v_mul_hi_u32 v11, v6, v12
	v_mul_lo_u32 v13, v6, v10
	v_mul_hi_u32 v15, v6, v10
	v_mul_hi_u32 v14, v7, v12
	v_mul_lo_u32 v12, v7, v12
	v_mul_hi_u32 v16, v7, v10
	v_add_co_u32_e32 v11, vcc, v11, v13
	v_addc_co_u32_e32 v13, vcc, 0, v15, vcc
	v_mul_lo_u32 v10, v7, v10
	v_add_co_u32_e32 v11, vcc, v11, v12
	v_addc_co_u32_e32 v11, vcc, v13, v14, vcc
	v_addc_co_u32_e32 v12, vcc, 0, v16, vcc
	v_add_co_u32_e32 v10, vcc, v11, v10
	v_addc_co_u32_e32 v11, vcc, 0, v12, vcc
	v_add_co_u32_e32 v6, vcc, v6, v10
	v_addc_co_u32_e32 v7, vcc, v7, v11, vcc
	v_mul_lo_u32 v10, s0, v7
	v_mul_hi_u32 v11, s0, v6
	v_mul_lo_u32 v12, s1, v6
	v_mul_lo_u32 v13, s0, v6
	v_add_u32_e32 v10, v11, v10
	v_add_u32_e32 v10, v10, v12
	v_mul_lo_u32 v14, v6, v10
	v_mul_hi_u32 v15, v6, v13
	v_mul_hi_u32 v16, v6, v10
	v_mul_hi_u32 v12, v7, v13
	v_mul_lo_u32 v13, v7, v13
	v_mul_hi_u32 v11, v7, v10
	v_add_co_u32_e32 v14, vcc, v15, v14
	v_addc_co_u32_e32 v15, vcc, 0, v16, vcc
	v_mul_lo_u32 v10, v7, v10
	v_add_co_u32_e32 v13, vcc, v14, v13
	v_addc_co_u32_e32 v12, vcc, v15, v12, vcc
	v_addc_co_u32_e32 v11, vcc, 0, v11, vcc
	v_add_co_u32_e32 v10, vcc, v12, v10
	v_addc_co_u32_e32 v11, vcc, 0, v11, vcc
	v_add_co_u32_e32 v10, vcc, v6, v10
	v_addc_co_u32_e32 v11, vcc, v7, v11, vcc
	v_mad_u64_u32 v[6:7], s[0:1], v8, v11, 0
	v_mul_hi_u32 v12, v8, v10
	v_add_co_u32_e32 v12, vcc, v12, v6
	v_addc_co_u32_e32 v13, vcc, 0, v7, vcc
	v_mad_u64_u32 v[6:7], s[0:1], v9, v10, 0
	v_mad_u64_u32 v[10:11], s[0:1], v9, v11, 0
	v_add_co_u32_e32 v6, vcc, v12, v6
	v_addc_co_u32_e32 v6, vcc, v13, v7, vcc
	v_addc_co_u32_e32 v7, vcc, 0, v11, vcc
	v_add_co_u32_e32 v10, vcc, v6, v10
	v_addc_co_u32_e32 v11, vcc, 0, v7, vcc
	v_mul_lo_u32 v12, s25, v10
	v_mul_lo_u32 v13, s24, v11
	v_mad_u64_u32 v[6:7], s[0:1], s24, v10, 0
	v_add3_u32 v7, v7, v13, v12
	v_sub_u32_e32 v12, v9, v7
	v_mov_b32_e32 v13, s25
	v_sub_co_u32_e32 v6, vcc, v8, v6
	v_subb_co_u32_e64 v12, s[0:1], v12, v13, vcc
	v_subrev_co_u32_e64 v13, s[0:1], s24, v6
	v_subbrev_co_u32_e64 v12, s[0:1], 0, v12, s[0:1]
	v_cmp_le_u32_e64 s[0:1], s25, v12
	v_cndmask_b32_e64 v14, 0, -1, s[0:1]
	v_cmp_le_u32_e64 s[0:1], s24, v13
	v_cndmask_b32_e64 v13, 0, -1, s[0:1]
	v_cmp_eq_u32_e64 s[0:1], s25, v12
	v_cndmask_b32_e64 v12, v14, v13, s[0:1]
	v_add_co_u32_e64 v13, s[0:1], 2, v10
	v_addc_co_u32_e64 v14, s[0:1], 0, v11, s[0:1]
	v_add_co_u32_e64 v15, s[0:1], 1, v10
	v_addc_co_u32_e64 v16, s[0:1], 0, v11, s[0:1]
	v_subb_co_u32_e32 v7, vcc, v9, v7, vcc
	v_cmp_ne_u32_e64 s[0:1], 0, v12
	v_cmp_le_u32_e32 vcc, s25, v7
	v_cndmask_b32_e64 v12, v16, v14, s[0:1]
	v_cndmask_b32_e64 v14, 0, -1, vcc
	v_cmp_le_u32_e32 vcc, s24, v6
	v_cndmask_b32_e64 v6, 0, -1, vcc
	v_cmp_eq_u32_e32 vcc, s25, v7
	v_cndmask_b32_e32 v6, v14, v6, vcc
	v_cmp_ne_u32_e32 vcc, 0, v6
	v_cndmask_b32_e64 v6, v15, v13, s[0:1]
	v_cndmask_b32_e32 v7, v11, v12, vcc
	v_cndmask_b32_e32 v6, v10, v6, vcc
.LBB0_4:                                ;   in Loop: Header=BB0_2 Depth=1
	s_andn2_saveexec_b64 s[0:1], s[26:27]
	s_cbranch_execz .LBB0_6
; %bb.5:                                ;   in Loop: Header=BB0_2 Depth=1
	v_cvt_f32_u32_e32 v6, s24
	s_sub_i32 s26, 0, s24
	v_rcp_iflag_f32_e32 v6, v6
	v_mul_f32_e32 v6, 0x4f7ffffe, v6
	v_cvt_u32_f32_e32 v6, v6
	v_mul_lo_u32 v7, s26, v6
	v_mul_hi_u32 v7, v6, v7
	v_add_u32_e32 v6, v6, v7
	v_mul_hi_u32 v6, v8, v6
	v_mul_lo_u32 v7, v6, s24
	v_add_u32_e32 v10, 1, v6
	v_sub_u32_e32 v7, v8, v7
	v_subrev_u32_e32 v11, s24, v7
	v_cmp_le_u32_e32 vcc, s24, v7
	v_cndmask_b32_e32 v7, v7, v11, vcc
	v_cndmask_b32_e32 v6, v6, v10, vcc
	v_add_u32_e32 v10, 1, v6
	v_cmp_le_u32_e32 vcc, s24, v7
	v_cndmask_b32_e32 v6, v6, v10, vcc
	v_mov_b32_e32 v7, v5
.LBB0_6:                                ;   in Loop: Header=BB0_2 Depth=1
	s_or_b64 exec, exec, s[0:1]
	v_mul_lo_u32 v12, v7, s24
	v_mul_lo_u32 v13, v6, s25
	v_mad_u64_u32 v[10:11], s[0:1], v6, s24, 0
	s_load_dwordx2 s[0:1], s[6:7], 0x0
	s_load_dwordx2 s[24:25], s[2:3], 0x0
	v_add3_u32 v11, v11, v13, v12
	v_sub_co_u32_e32 v8, vcc, v8, v10
	v_subb_co_u32_e32 v9, vcc, v9, v11, vcc
	s_waitcnt lgkmcnt(0)
	v_mul_lo_u32 v10, s0, v9
	v_mul_lo_u32 v11, s1, v8
	v_mad_u64_u32 v[1:2], s[0:1], s0, v8, v[1:2]
	v_mul_lo_u32 v9, s24, v9
	v_mul_lo_u32 v12, s25, v8
	v_mad_u64_u32 v[3:4], s[0:1], s24, v8, v[3:4]
	s_add_u32 s22, s22, 1
	s_addc_u32 s23, s23, 0
	s_add_u32 s2, s2, 8
	v_add3_u32 v4, v12, v4, v9
	s_addc_u32 s3, s3, 0
	v_mov_b32_e32 v8, s14
	s_add_u32 s6, s6, 8
	v_mov_b32_e32 v9, s15
	s_addc_u32 s7, s7, 0
	v_cmp_ge_u64_e32 vcc, s[22:23], v[8:9]
	s_add_u32 s20, s20, 8
	v_add3_u32 v2, v11, v2, v10
	s_addc_u32 s21, s21, 0
	s_cbranch_vccnz .LBB0_9
; %bb.7:                                ;   in Loop: Header=BB0_2 Depth=1
	v_mov_b32_e32 v9, v7
	v_mov_b32_e32 v8, v6
	s_branch .LBB0_2
.LBB0_8:
	v_mov_b32_e32 v4, v2
	v_mov_b32_e32 v6, v8
	;; [unrolled: 1-line block ×4, first 2 shown]
.LBB0_9:
	s_load_dwordx2 s[0:1], s[4:5], 0x28
	s_lshl_b64 s[6:7], s[14:15], 3
	s_add_u32 s4, s18, s6
	s_addc_u32 s5, s19, s7
                                        ; implicit-def: $sgpr14
                                        ; implicit-def: $sgpr15
                                        ; implicit-def: $vgpr8
	s_waitcnt lgkmcnt(0)
	v_cmp_gt_u64_e32 vcc, s[0:1], v[6:7]
	v_cmp_le_u64_e64 s[0:1], s[0:1], v[6:7]
	s_and_saveexec_b64 s[2:3], s[0:1]
	s_xor_b64 s[0:1], exec, s[2:3]
; %bb.10:
	s_mov_b32 s2, 0x5555556
	v_mul_hi_u32 v1, v0, s2
	s_mov_b32 s15, 0
	s_mov_b32 s14, 0
	v_mul_u32_u24_e32 v1, 48, v1
	v_sub_u32_e32 v8, v0, v1
                                        ; implicit-def: $vgpr0
                                        ; implicit-def: $vgpr1_vgpr2
; %bb.11:
	s_or_saveexec_b64 s[2:3], s[0:1]
	s_load_dwordx2 s[4:5], s[4:5], 0x0
	v_mov_b32_e32 v15, s15
	v_mov_b32_e32 v21, s15
	;; [unrolled: 1-line block ×5, first 2 shown]
                                        ; implicit-def: $vgpr22
                                        ; implicit-def: $vgpr9
                                        ; implicit-def: $vgpr23
                                        ; implicit-def: $vgpr11
                                        ; implicit-def: $vgpr25
                                        ; implicit-def: $vgpr18
                                        ; implicit-def: $vgpr29
                                        ; implicit-def: $vgpr14
                                        ; implicit-def: $vgpr26
                                        ; implicit-def: $vgpr13
                                        ; implicit-def: $vgpr31
                                        ; implicit-def: $vgpr10
                                        ; implicit-def: $vgpr32
                                        ; implicit-def: $vgpr16
                                        ; implicit-def: $vgpr30
                                        ; implicit-def: $vgpr12
                                        ; implicit-def: $vgpr20
                                        ; implicit-def: $vgpr24
                                        ; implicit-def: $vgpr28
                                        ; implicit-def: $vgpr27
	s_xor_b64 exec, exec, s[2:3]
	s_cbranch_execz .LBB0_15
; %bb.12:
	s_add_u32 s0, s16, s6
	s_addc_u32 s1, s17, s7
	s_load_dwordx2 s[0:1], s[0:1], 0x0
	s_mov_b32 s6, 0x5555556
	v_mul_hi_u32 v5, v0, s6
	v_mov_b32_e32 v19, 0
	v_mov_b32_e32 v17, 0
	s_waitcnt lgkmcnt(0)
	v_mul_lo_u32 v11, s1, v6
	v_mul_lo_u32 v12, s0, v7
	v_mad_u64_u32 v[9:10], s[0:1], s0, v6, 0
	v_mul_u32_u24_e32 v5, 48, v5
	v_sub_u32_e32 v8, v0, v5
	v_add3_u32 v10, v10, v12, v11
	v_lshlrev_b64 v[9:10], 2, v[9:10]
	v_mov_b32_e32 v0, s9
	v_add_co_u32_e64 v5, s[0:1], s8, v9
	v_addc_co_u32_e64 v9, s[0:1], v0, v10, s[0:1]
	v_lshlrev_b64 v[0:1], 2, v[1:2]
	v_lshlrev_b32_e32 v2, 2, v8
	v_add_co_u32_e64 v0, s[0:1], v5, v0
	v_addc_co_u32_e64 v1, s[0:1], v9, v1, s[0:1]
	v_add_co_u32_e64 v0, s[0:1], v0, v2
	v_addc_co_u32_e64 v1, s[0:1], 0, v1, s[0:1]
	global_load_dword v9, v[0:1], off
	global_load_dword v12, v[0:1], off offset:1776
	global_load_dword v14, v[0:1], off offset:1584
	;; [unrolled: 1-line block ×7, first 2 shown]
	v_cmp_gt_u32_e64 s[0:1], 36, v8
	v_mov_b32_e32 v21, 0
	v_mov_b32_e32 v15, 0
                                        ; implicit-def: $vgpr27
                                        ; implicit-def: $vgpr28
                                        ; implicit-def: $vgpr24
                                        ; implicit-def: $vgpr20
	s_and_saveexec_b64 s[6:7], s[0:1]
	s_cbranch_execz .LBB0_14
; %bb.13:
	global_load_dword v21, v[0:1], off offset:384
	global_load_dword v19, v[0:1], off offset:912
	;; [unrolled: 1-line block ×4, first 2 shown]
	s_waitcnt vmcnt(3)
	v_lshrrev_b32_e32 v15, 16, v21
	s_waitcnt vmcnt(2)
	v_lshrrev_b32_e32 v17, 16, v19
	;; [unrolled: 2-line block ×4, first 2 shown]
.LBB0_14:
	s_or_b64 exec, exec, s[6:7]
	s_waitcnt vmcnt(7)
	v_lshrrev_b32_e32 v22, 16, v9
	s_waitcnt vmcnt(1)
	v_lshrrev_b32_e32 v23, 16, v11
	v_lshrrev_b32_e32 v25, 16, v18
	v_lshrrev_b32_e32 v29, 16, v14
	s_waitcnt vmcnt(0)
	v_lshrrev_b32_e32 v26, 16, v13
	v_lshrrev_b32_e32 v31, 16, v10
	;; [unrolled: 1-line block ×4, first 2 shown]
	v_mov_b32_e32 v5, v8
.LBB0_15:
	s_or_b64 exec, exec, s[2:3]
	v_sub_f16_e32 v1, v9, v18
	v_sub_f16_e32 v0, v11, v14
	;; [unrolled: 1-line block ×3, first 2 shown]
	v_fma_f16 v2, v9, 2.0, -v1
	v_fma_f16 v9, v11, 2.0, -v0
	v_sub_f16_e32 v11, v1, v33
	v_fma_f16 v14, v1, 2.0, -v11
	v_sub_f16_e32 v16, v13, v16
	v_sub_f16_e32 v1, v10, v12
	;; [unrolled: 1-line block ×3, first 2 shown]
	v_fma_f16 v13, v13, 2.0, -v16
	v_sub_f16_e32 v36, v31, v30
	v_fma_f16 v10, v10, 2.0, -v1
	v_fma_f16 v2, v2, 2.0, -v9
	v_sub_f16_e32 v10, v13, v10
	v_sub_f16_e32 v29, v16, v36
	;; [unrolled: 1-line block ×4, first 2 shown]
	v_fma_f16 v13, v13, 2.0, -v10
	v_fma_f16 v30, v16, 2.0, -v29
	;; [unrolled: 1-line block ×3, first 2 shown]
	v_sub_f16_e32 v38, v17, v28
	v_fma_f16 v12, v19, 2.0, -v34
	v_lshl_add_u32 v35, v8, 3, 0
	v_pack_b32_f16 v9, v9, v11
	v_pack_b32_f16 v2, v2, v14
	v_add_u32_e32 v11, 48, v8
	v_sub_f16_e32 v12, v16, v12
	v_sub_f16_e32 v18, v24, v38
	ds_write2_b32 v35, v2, v9 offset1:1
	v_lshl_add_u32 v37, v11, 3, 0
	v_pack_b32_f16 v2, v10, v29
	v_pack_b32_f16 v9, v13, v30
	v_add_u32_e32 v10, 0x60, v8
	v_fma_f16 v16, v16, 2.0, -v12
	v_fma_f16 v19, v24, 2.0, -v18
	ds_write2_b32 v37, v9, v2 offset1:1
	v_cmp_gt_u32_e64 s[0:1], 36, v8
	v_lshl_add_u32 v2, v10, 3, 0
	s_and_saveexec_b64 s[2:3], s[0:1]
	s_cbranch_execz .LBB0_17
; %bb.16:
	s_mov_b32 s6, 0x5040100
	v_perm_b32 v9, v18, v12, s6
	v_perm_b32 v13, v19, v16, s6
	ds_write2_b32 v2, v13, v9 offset1:1
.LBB0_17:
	s_or_b64 exec, exec, s[2:3]
	v_mad_i32_i24 v9, v8, -6, v35
	s_waitcnt lgkmcnt(0)
	; wave barrier
	s_waitcnt lgkmcnt(0)
	ds_read_u16 v21, v9
	ds_read_u16 v27, v9 offset:888
	ds_read_u16 v28, v9 offset:792
	;; [unrolled: 1-line block ×7, first 2 shown]
	v_mul_i32_i24_e32 v9, -6, v8
	v_add_u32_e32 v9, v35, v9
	s_and_saveexec_b64 s[2:3], s[0:1]
	s_cbranch_execz .LBB0_19
; %bb.18:
	ds_read_u16 v16, v9 offset:192
	ds_read_u16 v19, v9 offset:456
	;; [unrolled: 1-line block ×4, first 2 shown]
.LBB0_19:
	s_or_b64 exec, exec, s[2:3]
	v_sub_f16_e32 v25, v22, v25
	v_fma_f16 v22, v22, 2.0, -v25
	v_fma_f16 v23, v23, 2.0, -v33
	v_sub_f16_e32 v32, v26, v32
	v_sub_f16_e32 v23, v22, v23
	v_add_f16_e32 v0, v25, v0
	v_fma_f16 v26, v26, 2.0, -v32
	v_fma_f16 v31, v31, 2.0, -v36
	v_sub_f16_e32 v20, v15, v20
	v_fma_f16 v22, v22, 2.0, -v23
	v_fma_f16 v25, v25, 2.0, -v0
	v_sub_f16_e32 v33, v26, v31
	v_add_f16_e32 v1, v32, v1
	v_fma_f16 v15, v15, 2.0, -v20
	v_fma_f16 v17, v17, 2.0, -v38
	v_add_f16_e32 v31, v20, v34
	v_fma_f16 v26, v26, 2.0, -v33
	v_fma_f16 v36, v32, 2.0, -v1
	v_sub_f16_e32 v17, v15, v17
	v_fma_f16 v32, v20, 2.0, -v31
	v_pack_b32_f16 v20, v22, v25
	v_pack_b32_f16 v0, v23, v0
	v_fma_f16 v15, v15, 2.0, -v17
	s_waitcnt lgkmcnt(0)
	; wave barrier
	s_waitcnt lgkmcnt(0)
	ds_write2_b32 v35, v20, v0 offset1:1
	v_pack_b32_f16 v0, v26, v36
	v_pack_b32_f16 v1, v33, v1
	ds_write2_b32 v37, v0, v1 offset1:1
	s_and_saveexec_b64 s[2:3], s[0:1]
	s_cbranch_execz .LBB0_21
; %bb.20:
	s_mov_b32 s6, 0x5040100
	v_perm_b32 v0, v31, v17, s6
	v_perm_b32 v1, v32, v15, s6
	ds_write2_b32 v2, v1, v0 offset1:1
.LBB0_21:
	s_or_b64 exec, exec, s[2:3]
	s_waitcnt lgkmcnt(0)
	; wave barrier
	s_waitcnt lgkmcnt(0)
	ds_read_u16 v20, v9
	ds_read_u16 v35, v9 offset:888
	ds_read_u16 v36, v9 offset:792
	;; [unrolled: 1-line block ×7, first 2 shown]
	v_lshlrev_b32_e32 v33, 2, v8
	v_lshlrev_b32_e32 v34, 2, v11
	s_and_saveexec_b64 s[2:3], s[0:1]
	s_cbranch_execz .LBB0_23
; %bb.22:
	ds_read_u16 v15, v9 offset:192
	ds_read_u16 v32, v9 offset:456
	ds_read_u16 v17, v9 offset:720
	ds_read_u16 v31, v9 offset:984
.LBB0_23:
	s_or_b64 exec, exec, s[2:3]
	v_and_b32_e32 v22, 3, v8
	v_mul_u32_u24_e32 v0, 3, v22
	v_lshlrev_b32_e32 v0, 2, v0
	global_load_dwordx3 v[0:2], v0, s[12:13]
	s_movk_i32 s2, 0xf0
	s_movk_i32 s3, 0x1f0
	v_and_or_b32 v33, v33, s2, v22
	v_and_or_b32 v39, v34, s3, v22
	v_lshl_add_u32 v34, v33, 1, 0
	v_lshl_add_u32 v33, v39, 1, 0
	s_waitcnt lgkmcnt(0)
	; wave barrier
	s_waitcnt vmcnt(0) lgkmcnt(0)
	v_mul_f16_sdwa v39, v38, v0 dst_sel:DWORD dst_unused:UNUSED_PAD src0_sel:DWORD src1_sel:WORD_1
	v_mul_f16_sdwa v40, v30, v0 dst_sel:DWORD dst_unused:UNUSED_PAD src0_sel:DWORD src1_sel:WORD_1
	;; [unrolled: 1-line block ×15, first 2 shown]
	v_fma_f16 v30, v30, v0, -v39
	v_fma_f16 v38, v38, v0, v40
	v_fma_f16 v28, v28, v2, -v42
	v_fma_f16 v39, v36, v2, v43
	;; [unrolled: 2-line block ×4, first 2 shown]
	v_fma_f16 v40, v14, v1, -v41
	v_fma_f16 v41, v13, v1, -v46
	;; [unrolled: 1-line block ×3, first 2 shown]
	v_fma_f16 v35, v32, v0, v50
	v_fma_f16 v0, v12, v1, -v51
	v_fma_f16 v18, v18, v2, -v52
	v_fma_f16 v2, v31, v2, v53
	v_sub_f16_e32 v31, v21, v40
	v_sub_f16_e32 v42, v30, v28
	v_sub_f16_e32 v44, v38, v39
	v_sub_f16_e32 v28, v24, v41
	v_sub_f16_e32 v39, v29, v27
	v_sub_f16_e32 v43, v36, v37
	v_sub_f16_e32 v0, v16, v0
	v_sub_f16_e32 v37, v19, v18
	v_sub_f16_e32 v40, v35, v2
	v_fma_f16 v21, v21, 2.0, -v31
	v_fma_f16 v18, v30, 2.0, -v42
	v_sub_f16_e32 v27, v31, v44
	v_fma_f16 v24, v24, 2.0, -v28
	v_fma_f16 v29, v29, 2.0, -v39
	;; [unrolled: 1-line block ×4, first 2 shown]
	v_sub_f16_e32 v16, v0, v40
	v_sub_f16_e32 v30, v28, v43
	;; [unrolled: 1-line block ×3, first 2 shown]
	v_fma_f16 v31, v31, 2.0, -v27
	v_sub_f16_e32 v29, v24, v29
	v_sub_f16_e32 v18, v2, v19
	v_fma_f16 v0, v0, 2.0, -v16
	v_lshlrev_b32_e32 v41, 2, v10
	v_fma_f16 v28, v28, 2.0, -v30
	ds_write_b16 v34, v27 offset:24
	v_fma_f16 v19, v21, 2.0, -v32
	v_fma_f16 v21, v24, 2.0, -v29
	ds_write_b16 v34, v31 offset:8
	ds_write_b16 v34, v32 offset:16
	ds_write_b16 v34, v19
	ds_write_b16 v33, v21
	ds_write_b16 v33, v28 offset:8
	ds_write_b16 v33, v29 offset:16
	;; [unrolled: 1-line block ×3, first 2 shown]
	s_and_saveexec_b64 s[2:3], s[0:1]
	s_cbranch_execz .LBB0_25
; %bb.24:
	s_movk_i32 s6, 0x3f0
	v_and_or_b32 v19, v41, s6, v22
	v_fma_f16 v2, v2, 2.0, -v18
	v_lshl_add_u32 v19, v19, 1, 0
	ds_write_b16 v19, v2
	ds_write_b16 v19, v0 offset:8
	ds_write_b16 v19, v18 offset:16
	;; [unrolled: 1-line block ×3, first 2 shown]
.LBB0_25:
	s_or_b64 exec, exec, s[2:3]
	s_waitcnt lgkmcnt(0)
	; wave barrier
	s_waitcnt lgkmcnt(0)
	ds_read_u16 v28, v9 offset:448
	ds_read_u16 v27, v9 offset:800
	;; [unrolled: 1-line block ×6, first 2 shown]
	v_lshl_add_u32 v2, v8, 1, 0
	ds_read_u16 v24, v9
	ds_read_u16 v21, v2 offset:192
	ds_read_u16 v31, v9 offset:896
	v_cmp_gt_u32_e64 s[2:3], 32, v8
	s_and_saveexec_b64 s[6:7], s[2:3]
	s_cbranch_execz .LBB0_27
; %bb.26:
	ds_read_u16 v0, v2 offset:288
	ds_read_u16 v18, v2 offset:640
	;; [unrolled: 1-line block ×3, first 2 shown]
.LBB0_27:
	s_or_b64 exec, exec, s[6:7]
	v_mul_f16_sdwa v14, v14, v1 dst_sel:DWORD dst_unused:UNUSED_PAD src0_sel:DWORD src1_sel:WORD_1
	v_fma_f16 v14, v26, v1, v14
	v_mul_f16_sdwa v13, v13, v1 dst_sel:DWORD dst_unused:UNUSED_PAD src0_sel:DWORD src1_sel:WORD_1
	v_mul_f16_sdwa v12, v12, v1 dst_sel:DWORD dst_unused:UNUSED_PAD src0_sel:DWORD src1_sel:WORD_1
	v_fma_f16 v13, v25, v1, v13
	v_fma_f16 v1, v17, v1, v12
	v_sub_f16_e32 v12, v20, v14
	v_add_f16_e32 v26, v12, v42
	v_fma_f16 v14, v20, 2.0, -v12
	v_fma_f16 v17, v38, 2.0, -v44
	v_fma_f16 v38, v12, 2.0, -v26
	v_sub_f16_e32 v12, v23, v13
	v_sub_f16_e32 v25, v14, v17
	v_fma_f16 v13, v23, 2.0, -v12
	v_fma_f16 v17, v36, 2.0, -v43
	v_add_f16_e32 v36, v12, v39
	v_sub_f16_e32 v1, v15, v1
	v_sub_f16_e32 v23, v13, v17
	v_fma_f16 v39, v12, 2.0, -v36
	v_fma_f16 v12, v15, 2.0, -v1
	v_fma_f16 v15, v35, 2.0, -v40
	v_add_f16_e32 v17, v1, v37
	v_fma_f16 v14, v14, 2.0, -v25
	v_sub_f16_e32 v20, v12, v15
	v_fma_f16 v1, v1, 2.0, -v17
	v_fma_f16 v13, v13, 2.0, -v23
	s_waitcnt lgkmcnt(0)
	; wave barrier
	s_waitcnt lgkmcnt(0)
	ds_write_b16 v34, v14
	ds_write_b16 v34, v38 offset:8
	ds_write_b16 v34, v25 offset:16
	;; [unrolled: 1-line block ×3, first 2 shown]
	ds_write_b16 v33, v13
	ds_write_b16 v33, v39 offset:8
	ds_write_b16 v33, v23 offset:16
	;; [unrolled: 1-line block ×3, first 2 shown]
	s_and_saveexec_b64 s[6:7], s[0:1]
	s_cbranch_execz .LBB0_29
; %bb.28:
	s_movk_i32 s0, 0x3f0
	v_and_or_b32 v13, v41, s0, v22
	v_fma_f16 v12, v12, 2.0, -v20
	v_lshl_add_u32 v13, v13, 1, 0
	ds_write_b16 v13, v12
	ds_write_b16 v13, v1 offset:8
	ds_write_b16 v13, v20 offset:16
	;; [unrolled: 1-line block ×3, first 2 shown]
.LBB0_29:
	s_or_b64 exec, exec, s[6:7]
	s_waitcnt lgkmcnt(0)
	; wave barrier
	s_waitcnt lgkmcnt(0)
	ds_read_u16 v23, v9 offset:448
	ds_read_u16 v22, v9 offset:800
	;; [unrolled: 1-line block ×6, first 2 shown]
	ds_read_u16 v15, v9
	ds_read_u16 v13, v2 offset:192
	ds_read_u16 v26, v9 offset:896
	s_and_saveexec_b64 s[0:1], s[2:3]
	s_cbranch_execz .LBB0_31
; %bb.30:
	ds_read_u16 v1, v2 offset:288
	ds_read_u16 v20, v2 offset:640
	;; [unrolled: 1-line block ×3, first 2 shown]
.LBB0_31:
	s_or_b64 exec, exec, s[0:1]
	v_and_b32_e32 v12, 15, v8
	v_lshlrev_b32_e32 v34, 3, v12
	global_load_dwordx2 v[41:42], v34, s[12:13] offset:48
	v_lshrrev_b32_e32 v34, 4, v8
	v_lshrrev_b32_e32 v11, 4, v11
	;; [unrolled: 1-line block ×3, first 2 shown]
	v_mul_u32_u24_e32 v34, 48, v34
	v_mul_u32_u24_e32 v11, 48, v11
	;; [unrolled: 1-line block ×3, first 2 shown]
	v_or_b32_e32 v34, v34, v12
	v_or_b32_e32 v11, v11, v12
	;; [unrolled: 1-line block ×3, first 2 shown]
	v_lshl_add_u32 v37, v34, 1, 0
	v_lshl_add_u32 v36, v11, 1, 0
	;; [unrolled: 1-line block ×3, first 2 shown]
	s_movk_i32 s6, 0x3aee
	s_mov_b32 s7, 0xbaee
	v_add_u32_e32 v43, 0x90, v8
	s_waitcnt lgkmcnt(0)
	; wave barrier
	s_waitcnt vmcnt(0) lgkmcnt(0)
	v_mul_f16_sdwa v10, v35, v41 dst_sel:DWORD dst_unused:UNUSED_PAD src0_sel:DWORD src1_sel:WORD_1
	v_mul_f16_sdwa v11, v32, v41 dst_sel:DWORD dst_unused:UNUSED_PAD src0_sel:DWORD src1_sel:WORD_1
	;; [unrolled: 1-line block ×13, first 2 shown]
	v_fma_f16 v32, v32, v41, -v10
	v_fma_f16 v39, v35, v41, v11
	v_fma_f16 v35, v30, v42, -v38
	v_fma_f16 v28, v28, v41, -v44
	;; [unrolled: 1-line block ×5, first 2 shown]
	v_mul_f16_sdwa v52, v20, v41 dst_sel:DWORD dst_unused:UNUSED_PAD src0_sel:DWORD src1_sel:WORD_1
	v_mul_f16_sdwa v53, v18, v41 dst_sel:DWORD dst_unused:UNUSED_PAD src0_sel:DWORD src1_sel:WORD_1
	;; [unrolled: 1-line block ×3, first 2 shown]
	v_fma_f16 v40, v33, v42, v40
	v_fma_f16 v33, v23, v41, v45
	;; [unrolled: 1-line block ×6, first 2 shown]
	v_add_f16_e32 v17, v32, v35
	v_add_f16_e32 v31, v28, v30
	;; [unrolled: 1-line block ×3, first 2 shown]
	v_fma_f16 v22, v18, v41, -v52
	v_fma_f16 v25, v20, v41, v53
	v_fma_f16 v23, v16, v42, -v54
	v_add_f16_e32 v16, v24, v32
	v_sub_f16_e32 v18, v39, v40
	v_add_f16_e32 v20, v19, v28
	v_sub_f16_e32 v41, v33, v38
	;; [unrolled: 2-line block ×3, first 2 shown]
	v_fma_f16 v17, v17, -0.5, v24
	v_fma_f16 v19, v31, -0.5, v19
	;; [unrolled: 1-line block ×3, first 2 shown]
	v_add_f16_e32 v16, v16, v35
	v_fma_f16 v31, v18, s6, v17
	v_fma_f16 v17, v18, s7, v17
	;; [unrolled: 1-line block ×6, first 2 shown]
	v_add_f16_e32 v20, v20, v30
	v_add_f16_e32 v24, v42, v11
	ds_write_b16 v37, v16
	ds_write_b16 v37, v31 offset:32
	ds_write_b16 v37, v17 offset:64
	ds_write_b16 v36, v20
	ds_write_b16 v36, v18 offset:32
	ds_write_b16 v36, v19 offset:64
	;; [unrolled: 3-line block ×3, first 2 shown]
	v_lshrrev_b32_e32 v21, 4, v43
	s_and_saveexec_b64 s[0:1], s[2:3]
	s_cbranch_execz .LBB0_33
; %bb.32:
	v_mul_u32_u24_e32 v16, 48, v21
	v_add_f16_e32 v17, v22, v23
	v_or_b32_e32 v16, v16, v12
	v_fma_f16 v17, v17, -0.5, v0
	v_add_f16_e32 v0, v0, v22
	v_lshl_add_u32 v16, v16, 1, 0
	v_sub_f16_e32 v18, v25, v26
	v_add_f16_e32 v0, v0, v23
	v_fma_f16 v19, v18, s7, v17
	v_fma_f16 v17, v18, s6, v17
	ds_write_b16 v16, v0
	ds_write_b16 v16, v17 offset:32
	ds_write_b16 v16, v19 offset:64
.LBB0_33:
	s_or_b64 exec, exec, s[0:1]
	v_add_f16_e32 v0, v15, v39
	v_add_f16_e32 v24, v0, v40
	v_add_f16_e32 v0, v39, v40
	v_fma_f16 v0, v0, -0.5, v15
	v_sub_f16_e32 v15, v32, v35
	v_fma_f16 v31, v15, s7, v0
	v_fma_f16 v32, v15, s6, v0
	v_add_f16_e32 v0, v14, v33
	v_add_f16_e32 v35, v0, v38
	v_add_f16_e32 v0, v33, v38
	v_fma_f16 v0, v0, -0.5, v14
	v_sub_f16_e32 v14, v28, v30
	v_fma_f16 v28, v14, s7, v0
	v_fma_f16 v30, v14, s6, v0
	;; [unrolled: 7-line block ×3, first 2 shown]
	s_waitcnt lgkmcnt(0)
	; wave barrier
	s_waitcnt lgkmcnt(0)
	ds_read_u16 v15, v2 offset:192
	ds_read_u16 v18, v9 offset:96
	;; [unrolled: 1-line block ×6, first 2 shown]
	ds_read_u16 v0, v9
	ds_read_u16 v16, v2 offset:288
	ds_read_u16 v17, v9 offset:768
	;; [unrolled: 1-line block ×4, first 2 shown]
	s_waitcnt lgkmcnt(0)
	; wave barrier
	s_waitcnt lgkmcnt(0)
	ds_write_b16 v37, v24
	ds_write_b16 v37, v31 offset:32
	ds_write_b16 v37, v32 offset:64
	ds_write_b16 v36, v35
	ds_write_b16 v36, v28 offset:32
	ds_write_b16 v36, v30 offset:64
	ds_write_b16 v34, v33
	ds_write_b16 v34, v27 offset:32
	ds_write_b16 v34, v29 offset:64
	s_and_saveexec_b64 s[0:1], s[2:3]
	s_cbranch_execz .LBB0_35
; %bb.34:
	v_add_f16_e32 v24, v1, v25
	v_add_f16_e32 v25, v25, v26
	v_mul_u32_u24_e32 v21, 48, v21
	v_fma_f16 v1, v25, -0.5, v1
	v_sub_f16_e32 v22, v22, v23
	s_mov_b32 s2, 0xbaee
	v_or_b32_e32 v12, v21, v12
	v_add_f16_e32 v24, v24, v26
	v_fma_f16 v23, v22, s2, v1
	s_movk_i32 s2, 0x3aee
	v_lshl_add_u32 v12, v12, 1, 0
	v_fma_f16 v1, v22, s2, v1
	ds_write_b16 v12, v24
	ds_write_b16 v12, v23 offset:32
	ds_write_b16 v12, v1 offset:64
.LBB0_35:
	s_or_b64 exec, exec, s[0:1]
	s_waitcnt lgkmcnt(0)
	; wave barrier
	s_waitcnt lgkmcnt(0)
	s_and_saveexec_b64 s[0:1], vcc
	s_cbranch_execz .LBB0_37
; %bb.36:
	v_mul_u32_u24_e32 v1, 10, v8
	v_lshlrev_b32_e32 v1, 2, v1
	global_load_dwordx2 v[29:30], v1, s[12:13] offset:208
	global_load_dwordx4 v[21:24], v1, s[12:13] offset:176
	global_load_dwordx4 v[25:28], v1, s[12:13] offset:192
	v_mul_lo_u32 v1, s5, v6
	v_mul_lo_u32 v12, s4, v7
	v_mad_u64_u32 v[7:8], s[0:1], s4, v6, 0
	ds_read_u16 v6, v9 offset:960
	ds_read_u16 v31, v9 offset:864
	;; [unrolled: 1-line block ×8, first 2 shown]
	ds_read_u16 v9, v9
	ds_read_u16 v38, v2 offset:192
	ds_read_u16 v2, v2 offset:288
	v_add3_u32 v8, v8, v12, v1
	s_movk_i32 s1, 0x3853
	s_movk_i32 s7, 0x3b47
	;; [unrolled: 1-line block ×7, first 2 shown]
	s_mov_b32 s3, 0xb08e
	s_mov_b32 s4, 0xb93d
	;; [unrolled: 1-line block ×7, first 2 shown]
	s_waitcnt vmcnt(2)
	v_mul_f16_sdwa v1, v20, v30 dst_sel:DWORD dst_unused:UNUSED_PAD src0_sel:DWORD src1_sel:WORD_1
	s_waitcnt vmcnt(1)
	v_mul_f16_sdwa v12, v18, v21 dst_sel:DWORD dst_unused:UNUSED_PAD src0_sel:DWORD src1_sel:WORD_1
	s_waitcnt lgkmcnt(3)
	v_mul_f16_sdwa v39, v37, v21 dst_sel:DWORD dst_unused:UNUSED_PAD src0_sel:DWORD src1_sel:WORD_1
	v_mul_f16_sdwa v40, v6, v30 dst_sel:DWORD dst_unused:UNUSED_PAD src0_sel:DWORD src1_sel:WORD_1
	;; [unrolled: 1-line block ×5, first 2 shown]
	s_waitcnt lgkmcnt(0)
	v_mul_f16_sdwa v47, v2, v23 dst_sel:DWORD dst_unused:UNUSED_PAD src0_sel:DWORD src1_sel:WORD_1
	s_waitcnt vmcnt(0)
	v_mul_f16_sdwa v49, v14, v27 dst_sel:DWORD dst_unused:UNUSED_PAD src0_sel:DWORD src1_sel:WORD_1
	v_mul_f16_sdwa v52, v33, v27 dst_sel:DWORD dst_unused:UNUSED_PAD src0_sel:DWORD src1_sel:WORD_1
	;; [unrolled: 1-line block ×4, first 2 shown]
	v_fma_f16 v1, v6, v30, v1
	v_fma_f16 v6, v37, v21, v12
	v_mul_f16_sdwa v43, v38, v22 dst_sel:DWORD dst_unused:UNUSED_PAD src0_sel:DWORD src1_sel:WORD_1
	v_mul_f16_sdwa v44, v31, v29 dst_sel:DWORD dst_unused:UNUSED_PAD src0_sel:DWORD src1_sel:WORD_1
	v_mul_f16_sdwa v45, v17, v28 dst_sel:DWORD dst_unused:UNUSED_PAD src0_sel:DWORD src1_sel:WORD_1
	v_fma_f16 v12, v18, v21, -v39
	v_fma_f16 v18, v20, v30, -v40
	v_fma_f16 v20, v31, v29, v41
	v_fma_f16 v21, v38, v22, v42
	v_fma_f16 v2, v2, v23, v46
	v_fma_f16 v16, v16, v23, -v47
	v_fma_f16 v23, v33, v27, v49
	v_fma_f16 v14, v14, v27, -v52
	v_fma_f16 v27, v35, v25, v54
	v_fma_f16 v11, v11, v25, -v55
	v_add_f16_e32 v25, v1, v6
	v_mul_f16_sdwa v48, v32, v28 dst_sel:DWORD dst_unused:UNUSED_PAD src0_sel:DWORD src1_sel:WORD_1
	v_mul_f16_sdwa v50, v13, v24 dst_sel:DWORD dst_unused:UNUSED_PAD src0_sel:DWORD src1_sel:WORD_1
	v_fma_f16 v15, v15, v22, -v43
	v_fma_f16 v19, v19, v29, -v44
	v_fma_f16 v22, v32, v28, v45
	v_sub_f16_e32 v29, v12, v18
	v_add_f16_e32 v30, v20, v21
	v_mul_f16_e32 v37, 0x3abb, v25
	v_mul_f16_sdwa v51, v36, v24 dst_sel:DWORD dst_unused:UNUSED_PAD src0_sel:DWORD src1_sel:WORD_1
	v_mul_f16_sdwa v53, v10, v26 dst_sel:DWORD dst_unused:UNUSED_PAD src0_sel:DWORD src1_sel:WORD_1
	v_fma_f16 v17, v17, v28, -v48
	v_fma_f16 v28, v36, v24, v50
	v_sub_f16_e32 v31, v15, v19
	v_add_f16_e32 v32, v22, v2
	v_mul_f16_e32 v38, 0x36a6, v30
	v_fma_f16 v42, v29, s1, v37
	v_mul_f16_sdwa v56, v34, v26 dst_sel:DWORD dst_unused:UNUSED_PAD src0_sel:DWORD src1_sel:WORD_1
	v_fma_f16 v13, v13, v24, -v51
	v_fma_f16 v24, v34, v26, v53
	v_sub_f16_e32 v33, v16, v17
	v_add_f16_e32 v34, v23, v28
	v_mul_f16_e32 v39, 0xb08e, v32
	v_fma_f16 v43, v31, s7, v38
	v_add_f16_e32 v42, v9, v42
	v_sub_f16_e32 v35, v13, v14
	v_add_f16_e32 v36, v24, v27
	v_mul_f16_e32 v40, 0xb93d, v34
	v_fma_f16 v44, v33, s6, v39
	v_add_f16_e32 v42, v42, v43
	v_fma_f16 v10, v10, v26, -v56
	v_mul_f16_e32 v41, 0xbbad, v36
	v_fma_f16 v45, v35, s12, v40
	v_add_f16_e32 v42, v42, v44
	v_sub_f16_e32 v26, v11, v10
	v_add_f16_e32 v42, v42, v45
	v_fma_f16 v43, v26, s8, v41
	v_sub_f16_e32 v44, v6, v1
	v_add_f16_e32 v42, v42, v43
	v_add_f16_e32 v43, v18, v12
	v_mul_f16_e32 v45, 0xb853, v44
	v_sub_f16_e32 v48, v21, v20
	v_fma_f16 v46, v43, s0, v45
	v_add_f16_e32 v47, v19, v15
	v_mul_f16_e32 v49, 0xbb47, v48
	v_add_f16_e32 v46, v0, v46
	v_fma_f16 v50, v47, s2, v49
	v_sub_f16_e32 v51, v2, v22
	v_add_f16_e32 v46, v46, v50
	v_add_f16_e32 v50, v17, v16
	v_mul_f16_e32 v52, 0xbbeb, v51
	v_fma_f16 v53, v50, s3, v52
	v_sub_f16_e32 v54, v28, v23
	v_add_f16_e32 v46, v46, v53
	v_add_f16_e32 v53, v14, v13
	v_mul_f16_e32 v55, 0xba0c, v54
	;; [unrolled: 5-line block ×3, first 2 shown]
	v_fma_f16 v59, v56, s5, v58
	v_add_f16_e32 v46, v46, v59
	v_mul_f16_e32 v59, 0x36a6, v25
	v_fma_f16 v60, v29, s7, v59
	v_mul_f16_e32 v61, 0xb93d, v30
	v_add_f16_e32 v60, v9, v60
	v_fma_f16 v62, v31, s12, v61
	v_add_f16_e32 v60, v60, v62
	v_mul_f16_e32 v62, 0xbbad, v32
	v_fma_f16 v63, v33, s9, v62
	v_add_f16_e32 v60, v60, v63
	v_mul_f16_e32 v63, 0xb08e, v34
	v_fma_f16 v64, v35, s13, v63
	v_add_f16_e32 v60, v60, v64
	v_mul_f16_e32 v64, 0x3abb, v36
	v_fma_f16 v65, v26, s14, v64
	v_add_f16_e32 v60, v60, v65
	v_mul_f16_e32 v65, 0xbb47, v44
	v_fma_f16 v66, v43, s2, v65
	v_mul_f16_e32 v67, 0xba0c, v48
	v_add_f16_e32 v66, v0, v66
	v_fma_f16 v68, v47, s4, v67
	v_add_f16_e32 v66, v66, v68
	v_mul_f16_e32 v68, 0x3482, v51
	v_fma_f16 v69, v50, s5, v68
	v_add_f16_e32 v66, v66, v69
	v_mul_f16_e32 v69, 0x3beb, v54
	v_fma_f16 v70, v53, s3, v69
	v_add_f16_e32 v66, v66, v70
	v_mul_f16_e32 v70, 0x3853, v57
	;; [unrolled: 15-line block ×6, first 2 shown]
	v_fma_f16 v95, v56, s2, v94
	v_mul_f16_e32 v25, 0xbbad, v25
	v_add_f16_e32 v90, v90, v95
	v_fma_f16 v95, v29, s8, v25
	v_mul_f16_e32 v30, 0x3abb, v30
	v_add_f16_e32 v95, v9, v95
	v_fma_f16 v96, v31, s14, v30
	v_mul_f16_e32 v32, 0xb93d, v32
	v_fma_f16 v25, v29, s9, v25
	v_add_f16_e32 v95, v95, v96
	v_fma_f16 v96, v33, s12, v32
	v_add_f16_e32 v25, v9, v25
	v_fma_f16 v30, v31, s1, v30
	s_mov_b32 s12, 0xba0c
	v_mul_f16_e32 v34, 0x36a6, v34
	v_add_f16_e32 v25, v25, v30
	v_fma_f16 v30, v33, s12, v32
	v_mul_f16_e32 v36, 0xb08e, v36
	v_add_f16_e32 v25, v25, v30
	v_fma_f16 v30, v35, s7, v34
	v_mul_f16_e32 v44, 0xb482, v44
	v_add_f16_e32 v25, v25, v30
	v_fma_f16 v30, v26, s13, v36
	v_mul_f16_e32 v48, 0x3853, v48
	v_add_f16_e32 v25, v25, v30
	v_fma_f16 v30, v43, s5, -v44
	v_mul_f16_e32 v51, 0xba0c, v51
	v_add_f16_e32 v30, v0, v30
	v_fma_f16 v32, v47, s0, -v48
	;; [unrolled: 3-line block ×4, first 2 shown]
	v_add_f16_e32 v30, v30, v32
	v_fma_f16 v32, v56, s3, -v57
	v_add_f16_e32 v30, v30, v32
	v_fma_f16 v32, v29, s12, v83
	v_add_f16_e32 v95, v95, v96
	v_fma_f16 v96, v35, s15, v34
	;; [unrolled: 2-line block ×6, first 2 shown]
	v_add_f16_e32 v32, v32, v34
	v_fma_f16 v34, v43, s4, -v89
	v_add_f16_e32 v95, v95, v96
	v_fma_f16 v96, v26, s6, v36
	v_add_f16_e32 v34, v0, v34
	v_fma_f16 v36, v47, s3, -v91
	v_add_f16_e32 v34, v34, v36
	v_fma_f16 v36, v50, s0, -v92
	;; [unrolled: 2-line block ×4, first 2 shown]
	v_add_f16_e32 v34, v34, v36
	v_fma_f16 v36, v29, s13, v71
	v_add_f16_e32 v95, v95, v96
	v_fma_f16 v96, v43, s5, v44
	;; [unrolled: 2-line block ×6, first 2 shown]
	v_add_f16_e32 v36, v36, v44
	v_fma_f16 v44, v43, s3, -v77
	v_fma_f16 v97, v47, s0, v48
	v_add_f16_e32 v44, v0, v44
	v_fma_f16 v48, v47, s5, -v79
	v_add_f16_e32 v44, v44, v48
	v_fma_f16 v48, v50, s2, -v80
	;; [unrolled: 2-line block ×4, first 2 shown]
	v_add_f16_e32 v96, v0, v96
	v_add_f16_e32 v44, v44, v48
	v_fma_f16 v48, v29, s15, v59
	v_fma_f16 v29, v29, s14, v37
	v_add_f16_e32 v96, v96, v97
	v_fma_f16 v97, v50, s4, v51
	v_add_f16_e32 v48, v9, v48
	v_fma_f16 v51, v31, s12, v61
	v_fma_f16 v31, v31, s15, v38
	v_add_f16_e32 v29, v9, v29
	v_add_f16_e32 v48, v48, v51
	v_fma_f16 v51, v33, s8, v62
	v_add_f16_e32 v29, v29, v31
	v_fma_f16 v31, v33, s13, v39
	;; [unrolled: 2-line block ×6, first 2 shown]
	v_add_f16_e32 v48, v48, v51
	v_fma_f16 v51, v43, s2, -v65
	v_add_f16_e32 v26, v29, v26
	v_fma_f16 v29, v43, s0, -v45
	v_add_f16_e32 v51, v0, v51
	v_add_f16_e32 v29, v0, v29
	;; [unrolled: 1-line block ×22, first 2 shown]
	v_lshlrev_b64 v[0:1], 2, v[7:8]
	v_mov_b32_e32 v7, s11
	v_add_co_u32_e32 v8, vcc, s10, v0
	v_addc_co_u32_e32 v7, vcc, v7, v1, vcc
	v_lshlrev_b64 v[0:1], 2, v[3:4]
	v_fma_f16 v31, v47, s2, -v49
	v_mov_b32_e32 v6, 0
	v_add_co_u32_e32 v3, vcc, v8, v0
	v_add_f16_e32 v96, v96, v97
	v_fma_f16 v97, v53, s2, v54
	v_fma_f16 v54, v47, s4, -v67
	v_add_f16_e32 v29, v29, v31
	v_fma_f16 v31, v50, s3, -v52
	v_addc_co_u32_e32 v4, vcc, v7, v1, vcc
	v_lshlrev_b64 v[0:1], 2, v[5:6]
	v_add_f16_e32 v51, v51, v54
	v_fma_f16 v54, v50, s5, -v68
	v_add_f16_e32 v29, v29, v31
	v_fma_f16 v31, v53, s4, -v55
	;; [unrolled: 2-line block ×4, first 2 shown]
	v_add_co_u32_e32 v0, vcc, v3, v0
	v_add_f16_e32 v51, v51, v54
	v_fma_f16 v54, v56, s0, -v70
	v_add_f16_e32 v29, v29, v31
	v_addc_co_u32_e32 v1, vcc, v4, v1, vcc
	v_pack_b32_f16 v2, v10, v2
	v_add_f16_e32 v51, v51, v54
	global_store_dword v[0:1], v2, off
	v_pack_b32_f16 v2, v29, v26
	global_store_dword v[0:1], v2, off offset:192
	v_pack_b32_f16 v2, v51, v48
	global_store_dword v[0:1], v2, off offset:384
	v_pack_b32_f16 v2, v44, v36
	v_add_f16_e32 v96, v96, v97
	v_fma_f16 v97, v56, s3, v57
	global_store_dword v[0:1], v2, off offset:576
	v_pack_b32_f16 v2, v34, v32
	v_add_f16_e32 v96, v96, v97
	global_store_dword v[0:1], v2, off offset:768
	v_pack_b32_f16 v2, v30, v25
	global_store_dword v[0:1], v2, off offset:960
	v_pack_b32_f16 v2, v96, v95
	;; [unrolled: 2-line block ×6, first 2 shown]
	global_store_dword v[0:1], v2, off offset:1920
.LBB0_37:
	s_endpgm
	.section	.rodata,"a",@progbits
	.p2align	6, 0x0
	.amdhsa_kernel fft_rtc_fwd_len528_factors_4_4_3_11_wgs_48_tpt_48_halfLds_half_op_CI_CI_unitstride_sbrr_dirReg
		.amdhsa_group_segment_fixed_size 0
		.amdhsa_private_segment_fixed_size 0
		.amdhsa_kernarg_size 104
		.amdhsa_user_sgpr_count 6
		.amdhsa_user_sgpr_private_segment_buffer 1
		.amdhsa_user_sgpr_dispatch_ptr 0
		.amdhsa_user_sgpr_queue_ptr 0
		.amdhsa_user_sgpr_kernarg_segment_ptr 1
		.amdhsa_user_sgpr_dispatch_id 0
		.amdhsa_user_sgpr_flat_scratch_init 0
		.amdhsa_user_sgpr_private_segment_size 0
		.amdhsa_uses_dynamic_stack 0
		.amdhsa_system_sgpr_private_segment_wavefront_offset 0
		.amdhsa_system_sgpr_workgroup_id_x 1
		.amdhsa_system_sgpr_workgroup_id_y 0
		.amdhsa_system_sgpr_workgroup_id_z 0
		.amdhsa_system_sgpr_workgroup_info 0
		.amdhsa_system_vgpr_workitem_id 0
		.amdhsa_next_free_vgpr 98
		.amdhsa_next_free_sgpr 28
		.amdhsa_reserve_vcc 1
		.amdhsa_reserve_flat_scratch 0
		.amdhsa_float_round_mode_32 0
		.amdhsa_float_round_mode_16_64 0
		.amdhsa_float_denorm_mode_32 3
		.amdhsa_float_denorm_mode_16_64 3
		.amdhsa_dx10_clamp 1
		.amdhsa_ieee_mode 1
		.amdhsa_fp16_overflow 0
		.amdhsa_exception_fp_ieee_invalid_op 0
		.amdhsa_exception_fp_denorm_src 0
		.amdhsa_exception_fp_ieee_div_zero 0
		.amdhsa_exception_fp_ieee_overflow 0
		.amdhsa_exception_fp_ieee_underflow 0
		.amdhsa_exception_fp_ieee_inexact 0
		.amdhsa_exception_int_div_zero 0
	.end_amdhsa_kernel
	.text
.Lfunc_end0:
	.size	fft_rtc_fwd_len528_factors_4_4_3_11_wgs_48_tpt_48_halfLds_half_op_CI_CI_unitstride_sbrr_dirReg, .Lfunc_end0-fft_rtc_fwd_len528_factors_4_4_3_11_wgs_48_tpt_48_halfLds_half_op_CI_CI_unitstride_sbrr_dirReg
                                        ; -- End function
	.section	.AMDGPU.csdata,"",@progbits
; Kernel info:
; codeLenInByte = 7148
; NumSgprs: 32
; NumVgprs: 98
; ScratchSize: 0
; MemoryBound: 0
; FloatMode: 240
; IeeeMode: 1
; LDSByteSize: 0 bytes/workgroup (compile time only)
; SGPRBlocks: 3
; VGPRBlocks: 24
; NumSGPRsForWavesPerEU: 32
; NumVGPRsForWavesPerEU: 98
; Occupancy: 2
; WaveLimiterHint : 1
; COMPUTE_PGM_RSRC2:SCRATCH_EN: 0
; COMPUTE_PGM_RSRC2:USER_SGPR: 6
; COMPUTE_PGM_RSRC2:TRAP_HANDLER: 0
; COMPUTE_PGM_RSRC2:TGID_X_EN: 1
; COMPUTE_PGM_RSRC2:TGID_Y_EN: 0
; COMPUTE_PGM_RSRC2:TGID_Z_EN: 0
; COMPUTE_PGM_RSRC2:TIDIG_COMP_CNT: 0
	.type	__hip_cuid_f765d032e9e29fd8,@object ; @__hip_cuid_f765d032e9e29fd8
	.section	.bss,"aw",@nobits
	.globl	__hip_cuid_f765d032e9e29fd8
__hip_cuid_f765d032e9e29fd8:
	.byte	0                               ; 0x0
	.size	__hip_cuid_f765d032e9e29fd8, 1

	.ident	"AMD clang version 19.0.0git (https://github.com/RadeonOpenCompute/llvm-project roc-6.4.0 25133 c7fe45cf4b819c5991fe208aaa96edf142730f1d)"
	.section	".note.GNU-stack","",@progbits
	.addrsig
	.addrsig_sym __hip_cuid_f765d032e9e29fd8
	.amdgpu_metadata
---
amdhsa.kernels:
  - .args:
      - .actual_access:  read_only
        .address_space:  global
        .offset:         0
        .size:           8
        .value_kind:     global_buffer
      - .offset:         8
        .size:           8
        .value_kind:     by_value
      - .actual_access:  read_only
        .address_space:  global
        .offset:         16
        .size:           8
        .value_kind:     global_buffer
      - .actual_access:  read_only
        .address_space:  global
        .offset:         24
        .size:           8
        .value_kind:     global_buffer
      - .actual_access:  read_only
        .address_space:  global
        .offset:         32
        .size:           8
        .value_kind:     global_buffer
      - .offset:         40
        .size:           8
        .value_kind:     by_value
      - .actual_access:  read_only
        .address_space:  global
        .offset:         48
        .size:           8
        .value_kind:     global_buffer
      - .actual_access:  read_only
        .address_space:  global
        .offset:         56
        .size:           8
        .value_kind:     global_buffer
      - .offset:         64
        .size:           4
        .value_kind:     by_value
      - .actual_access:  read_only
        .address_space:  global
        .offset:         72
        .size:           8
        .value_kind:     global_buffer
      - .actual_access:  read_only
        .address_space:  global
        .offset:         80
        .size:           8
        .value_kind:     global_buffer
      - .actual_access:  read_only
        .address_space:  global
        .offset:         88
        .size:           8
        .value_kind:     global_buffer
      - .actual_access:  write_only
        .address_space:  global
        .offset:         96
        .size:           8
        .value_kind:     global_buffer
    .group_segment_fixed_size: 0
    .kernarg_segment_align: 8
    .kernarg_segment_size: 104
    .language:       OpenCL C
    .language_version:
      - 2
      - 0
    .max_flat_workgroup_size: 48
    .name:           fft_rtc_fwd_len528_factors_4_4_3_11_wgs_48_tpt_48_halfLds_half_op_CI_CI_unitstride_sbrr_dirReg
    .private_segment_fixed_size: 0
    .sgpr_count:     32
    .sgpr_spill_count: 0
    .symbol:         fft_rtc_fwd_len528_factors_4_4_3_11_wgs_48_tpt_48_halfLds_half_op_CI_CI_unitstride_sbrr_dirReg.kd
    .uniform_work_group_size: 1
    .uses_dynamic_stack: false
    .vgpr_count:     98
    .vgpr_spill_count: 0
    .wavefront_size: 64
amdhsa.target:   amdgcn-amd-amdhsa--gfx906
amdhsa.version:
  - 1
  - 2
...

	.end_amdgpu_metadata
